;; amdgpu-corpus repo=ROCm/rocFFT kind=compiled arch=gfx906 opt=O3
	.text
	.amdgcn_target "amdgcn-amd-amdhsa--gfx906"
	.amdhsa_code_object_version 6
	.protected	bluestein_single_fwd_len400_dim1_dp_op_CI_CI ; -- Begin function bluestein_single_fwd_len400_dim1_dp_op_CI_CI
	.globl	bluestein_single_fwd_len400_dim1_dp_op_CI_CI
	.p2align	8
	.type	bluestein_single_fwd_len400_dim1_dp_op_CI_CI,@function
bluestein_single_fwd_len400_dim1_dp_op_CI_CI: ; @bluestein_single_fwd_len400_dim1_dp_op_CI_CI
; %bb.0:
	v_mul_u32_u24_e32 v1, 0x667, v0
	s_load_dwordx4 s[12:15], s[4:5], 0x28
	v_lshrrev_b32_e32 v1, 16, v1
	v_mad_u64_u32 v[154:155], s[0:1], s6, 3, v[1:2]
	v_mov_b32_e32 v155, 0
	s_waitcnt lgkmcnt(0)
	v_cmp_gt_u64_e32 vcc, s[12:13], v[154:155]
	s_and_saveexec_b64 s[0:1], vcc
	s_cbranch_execz .LBB0_15
; %bb.1:
	s_load_dwordx4 s[0:3], s[4:5], 0x18
	s_load_dwordx2 s[12:13], s[4:5], 0x0
	v_mul_lo_u16_e32 v1, 40, v1
	v_sub_u16_e32 v155, v0, v1
	v_lshlrev_b32_e32 v82, 4, v155
	s_waitcnt lgkmcnt(0)
	s_load_dwordx4 s[8:11], s[0:1], 0x0
	global_load_dwordx4 v[8:11], v82, s[12:13]
	s_waitcnt lgkmcnt(0)
	v_mad_u64_u32 v[0:1], s[0:1], s10, v154, 0
	v_mad_u64_u32 v[2:3], s[0:1], s8, v155, 0
	s_mul_i32 s6, s9, 0x64
	s_mul_hi_u32 s7, s8, 0x64
	v_mad_u64_u32 v[4:5], s[0:1], s11, v154, v[1:2]
	s_add_i32 s7, s7, s6
	s_mul_i32 s6, s8, 0x64
	v_mad_u64_u32 v[5:6], s[0:1], s9, v155, v[3:4]
	v_mov_b32_e32 v1, v4
	v_lshlrev_b64 v[0:1], 4, v[0:1]
	v_mov_b32_e32 v6, s15
	v_mov_b32_e32 v3, v5
	v_add_co_u32_e32 v4, vcc, s14, v0
	v_addc_co_u32_e32 v5, vcc, v6, v1, vcc
	v_lshlrev_b64 v[0:1], 4, v[2:3]
	v_mov_b32_e32 v2, s13
	v_add_co_u32_e32 v0, vcc, v4, v0
	v_add_co_u32_e64 v152, s[0:1], s12, v82
	v_addc_co_u32_e32 v1, vcc, v5, v1, vcc
	global_load_dwordx4 v[4:7], v82, s[12:13] offset:1600
	v_addc_co_u32_e64 v153, vcc, 0, v2, s[0:1]
	s_lshl_b64 s[14:15], s[6:7], 4
	global_load_dwordx4 v[36:39], v[0:1], off
	v_mov_b32_e32 v30, s15
	v_add_co_u32_e32 v12, vcc, s14, v0
	v_addc_co_u32_e32 v13, vcc, v1, v30, vcc
	v_add_co_u32_e32 v14, vcc, s14, v12
	v_addc_co_u32_e32 v15, vcc, v13, v30, vcc
	;; [unrolled: 2-line block ×3, first 2 shown]
	s_movk_i32 s6, 0x1000
	v_add_co_u32_e32 v32, vcc, s6, v152
	v_addc_co_u32_e32 v33, vcc, 0, v153, vcc
	s_mul_hi_u32 s7, s8, 0xfffffefc
	global_load_dwordx4 v[40:43], v[12:13], off
	global_load_dwordx4 v[44:47], v[14:15], off
	global_load_dwordx4 v[0:3], v82, s[12:13] offset:3200
	global_load_dwordx4 v[48:51], v[16:17], off
	s_mul_i32 s6, s9, 0xfffffefc
	global_load_dwordx4 v[12:15], v[32:33], off offset:704
	s_sub_i32 s7, s7, s8
	s_add_i32 s7, s7, s6
	s_mul_i32 s6, s8, 0xfffffefc
	s_lshl_b64 s[16:17], s[6:7], 4
	v_mov_b32_e32 v18, s17
	v_add_co_u32_e32 v20, vcc, s16, v16
	v_addc_co_u32_e32 v21, vcc, v17, v18, vcc
	v_add_co_u32_e32 v24, vcc, s14, v20
	v_addc_co_u32_e32 v25, vcc, v21, v30, vcc
	v_add_co_u32_e32 v28, vcc, s14, v24
	global_load_dwordx4 v[52:55], v[20:21], off
	global_load_dwordx4 v[16:19], v82, s[12:13] offset:640
	v_addc_co_u32_e32 v29, vcc, v25, v30, vcc
	global_load_dwordx4 v[56:59], v[24:25], off
	global_load_dwordx4 v[20:23], v82, s[12:13] offset:2240
	v_add_co_u32_e32 v34, vcc, s14, v28
	global_load_dwordx4 v[60:63], v[28:29], off
	global_load_dwordx4 v[24:27], v82, s[12:13] offset:3840
	v_addc_co_u32_e32 v35, vcc, v29, v30, vcc
	global_load_dwordx4 v[64:67], v[34:35], off
	global_load_dwordx4 v[28:31], v[32:33], off offset:1344
	s_mov_b32 s6, 0xaaaaaaab
	v_mul_hi_u32 v68, v154, s6
	s_load_dwordx2 s[6:7], s[4:5], 0x38
	s_load_dwordx4 s[8:11], s[2:3], 0x0
	v_cmp_gt_u16_e32 vcc, 20, v155
	v_lshrrev_b32_e32 v68, 1, v68
	v_lshl_add_u32 v68, v68, 1, v68
	v_sub_u32_e32 v68, v154, v68
	v_mul_u32_u24_e32 v70, 0x190, v68
	v_lshlrev_b32_e32 v157, 4, v70
	v_add_u32_e32 v156, v82, v157
	s_waitcnt vmcnt(13)
	v_mul_f64 v[68:69], v[38:39], v[10:11]
	v_mul_f64 v[70:71], v[36:37], v[10:11]
	v_fma_f64 v[36:37], v[36:37], v[8:9], v[68:69]
	v_fma_f64 v[38:39], v[38:39], v[8:9], -v[70:71]
	s_waitcnt vmcnt(12)
	v_mul_f64 v[72:73], v[42:43], v[6:7]
	v_mul_f64 v[74:75], v[40:41], v[6:7]
	s_waitcnt vmcnt(10)
	v_mul_f64 v[76:77], v[46:47], v[2:3]
	v_mul_f64 v[78:79], v[44:45], v[2:3]
	;; [unrolled: 3-line block ×3, first 2 shown]
	v_fma_f64 v[40:41], v[40:41], v[4:5], v[72:73]
	v_fma_f64 v[42:43], v[42:43], v[4:5], -v[74:75]
	v_fma_f64 v[44:45], v[44:45], v[0:1], v[76:77]
	v_fma_f64 v[46:47], v[46:47], v[0:1], -v[78:79]
	v_fma_f64 v[50:51], v[50:51], v[12:13], -v[68:69]
	v_fma_f64 v[48:49], v[48:49], v[12:13], v[80:81]
	s_waitcnt vmcnt(6)
	v_mul_f64 v[68:69], v[54:55], v[18:19]
	v_mul_f64 v[70:71], v[52:53], v[18:19]
	s_waitcnt vmcnt(4)
	v_mul_f64 v[72:73], v[58:59], v[22:23]
	v_mul_f64 v[74:75], v[56:57], v[22:23]
	;; [unrolled: 3-line block ×3, first 2 shown]
	v_fma_f64 v[52:53], v[52:53], v[16:17], v[68:69]
	s_waitcnt vmcnt(0)
	v_mul_f64 v[80:81], v[66:67], v[30:31]
	v_mul_f64 v[82:83], v[64:65], v[30:31]
	v_fma_f64 v[54:55], v[54:55], v[16:17], -v[70:71]
	v_fma_f64 v[56:57], v[56:57], v[20:21], v[72:73]
	v_fma_f64 v[58:59], v[58:59], v[20:21], -v[74:75]
	v_fma_f64 v[60:61], v[60:61], v[24:25], v[76:77]
	;; [unrolled: 2-line block ×3, first 2 shown]
	v_fma_f64 v[66:67], v[66:67], v[28:29], -v[82:83]
	ds_write_b128 v156, v[36:39]
	ds_write_b128 v156, v[40:43] offset:1600
	ds_write_b128 v156, v[44:47] offset:3200
	;; [unrolled: 1-line block ×7, first 2 shown]
	s_and_saveexec_b64 s[18:19], vcc
	s_cbranch_execz .LBB0_3
; %bb.2:
	v_mov_b32_e32 v36, s17
	v_add_co_u32_e64 v38, s[2:3], s16, v34
	v_addc_co_u32_e64 v39, s[2:3], v35, v36, s[2:3]
	v_mov_b32_e32 v56, s15
	v_add_co_u32_e64 v50, s[2:3], s14, v38
	v_addc_co_u32_e64 v51, s[2:3], v39, v56, s[2:3]
	global_load_dwordx4 v[34:37], v[38:39], off
	v_add_co_u32_e64 v54, s[2:3], s14, v50
	global_load_dwordx4 v[38:41], v[50:51], off
	global_load_dwordx4 v[42:45], v[152:153], off offset:1280
	global_load_dwordx4 v[46:49], v[152:153], off offset:2880
	v_addc_co_u32_e64 v55, s[2:3], v51, v56, s[2:3]
	global_load_dwordx4 v[50:53], v[54:55], off
	v_add_co_u32_e64 v66, s[2:3], s14, v54
	v_addc_co_u32_e64 v67, s[2:3], v55, v56, s[2:3]
	global_load_dwordx4 v[54:57], v[32:33], off offset:384
	global_load_dwordx4 v[58:61], v[32:33], off offset:1984
	global_load_dwordx4 v[62:65], v[66:67], off
	s_waitcnt vmcnt(5)
	v_mul_f64 v[32:33], v[36:37], v[44:45]
	v_mul_f64 v[44:45], v[34:35], v[44:45]
	s_waitcnt vmcnt(4)
	v_mul_f64 v[66:67], v[40:41], v[48:49]
	v_mul_f64 v[48:49], v[38:39], v[48:49]
	s_waitcnt vmcnt(2)
	v_mul_f64 v[68:69], v[52:53], v[56:57]
	v_mul_f64 v[56:57], v[50:51], v[56:57]
	s_waitcnt vmcnt(0)
	v_mul_f64 v[70:71], v[64:65], v[60:61]
	v_mul_f64 v[60:61], v[62:63], v[60:61]
	v_fma_f64 v[32:33], v[34:35], v[42:43], v[32:33]
	v_fma_f64 v[34:35], v[36:37], v[42:43], -v[44:45]
	v_fma_f64 v[36:37], v[38:39], v[46:47], v[66:67]
	v_fma_f64 v[38:39], v[40:41], v[46:47], -v[48:49]
	;; [unrolled: 2-line block ×4, first 2 shown]
	ds_write_b128 v156, v[32:35] offset:1280
	ds_write_b128 v156, v[36:39] offset:2880
	;; [unrolled: 1-line block ×4, first 2 shown]
.LBB0_3:
	s_or_b64 exec, exec, s[18:19]
	s_waitcnt lgkmcnt(0)
	s_barrier
	ds_read_b128 v[64:67], v156
	ds_read_b128 v[40:43], v156 offset:640
	ds_read_b128 v[68:71], v156 offset:1600
	;; [unrolled: 1-line block ×7, first 2 shown]
	s_load_dwordx2 s[4:5], s[4:5], 0x8
                                        ; implicit-def: $vgpr32_vgpr33
                                        ; implicit-def: $vgpr52_vgpr53
                                        ; implicit-def: $vgpr48_vgpr49
                                        ; implicit-def: $vgpr36_vgpr37
	s_and_saveexec_b64 s[2:3], vcc
	s_cbranch_execz .LBB0_5
; %bb.4:
	ds_read_b128 v[32:35], v156 offset:1280
	ds_read_b128 v[36:39], v156 offset:2880
	;; [unrolled: 1-line block ×4, first 2 shown]
.LBB0_5:
	s_or_b64 exec, exec, s[2:3]
	s_waitcnt lgkmcnt(0)
	v_add_f64 v[76:77], v[64:65], -v[76:77]
	v_add_f64 v[78:79], v[66:67], -v[78:79]
	;; [unrolled: 1-line block ×8, first 2 shown]
	v_fma_f64 v[64:65], v[64:65], 2.0, -v[76:77]
	v_fma_f64 v[66:67], v[66:67], 2.0, -v[78:79]
	;; [unrolled: 1-line block ×4, first 2 shown]
	v_add_f64 v[60:61], v[76:77], -v[74:75]
	v_add_f64 v[62:63], v[78:79], v[72:73]
	v_fma_f64 v[72:73], v[40:41], 2.0, -v[80:81]
	v_fma_f64 v[74:75], v[42:43], 2.0, -v[82:83]
	;; [unrolled: 1-line block ×4, first 2 shown]
	v_add_f64 v[40:41], v[32:33], -v[48:49]
	v_add_f64 v[42:43], v[34:35], -v[50:51]
	v_add_f64 v[88:89], v[36:37], -v[52:53]
	v_add_f64 v[90:91], v[38:39], -v[54:55]
	v_add_f64 v[56:57], v[64:65], -v[68:69]
	v_add_f64 v[58:59], v[66:67], -v[70:71]
	v_add_f64 v[48:49], v[72:73], -v[44:45]
	v_add_f64 v[50:51], v[74:75], -v[46:47]
	v_fma_f64 v[32:33], v[32:33], 2.0, -v[40:41]
	v_fma_f64 v[34:35], v[34:35], 2.0, -v[42:43]
	;; [unrolled: 1-line block ×4, first 2 shown]
	v_add_f64 v[52:53], v[80:81], -v[86:87]
	v_add_f64 v[54:55], v[82:83], v[84:85]
	v_fma_f64 v[64:65], v[64:65], 2.0, -v[56:57]
	v_fma_f64 v[66:67], v[66:67], 2.0, -v[58:59]
	v_fma_f64 v[72:73], v[72:73], 2.0, -v[48:49]
	v_fma_f64 v[74:75], v[74:75], 2.0, -v[50:51]
	v_add_f64 v[36:37], v[32:33], -v[36:37]
	v_add_f64 v[38:39], v[34:35], -v[38:39]
	;; [unrolled: 1-line block ×3, first 2 shown]
	v_add_f64 v[46:47], v[42:43], v[88:89]
	v_fma_f64 v[68:69], v[76:77], 2.0, -v[60:61]
	v_fma_f64 v[70:71], v[78:79], 2.0, -v[62:63]
	;; [unrolled: 1-line block ×4, first 2 shown]
	s_movk_i32 s2, 0x50
	v_add_co_u32_e64 v92, s[2:3], s2, v155
	v_lshlrev_b16_e32 v80, 2, v155
	v_lshl_add_u32 v159, v80, 4, v157
	v_lshl_add_u32 v161, v155, 6, v157
	;; [unrolled: 1-line block ×3, first 2 shown]
	s_barrier
	ds_write_b128 v159, v[64:67]
	ds_write_b128 v159, v[68:71] offset:16
	ds_write_b128 v159, v[56:59] offset:32
	;; [unrolled: 1-line block ×7, first 2 shown]
	s_and_saveexec_b64 s[2:3], vcc
	s_cbranch_execz .LBB0_7
; %bb.6:
	v_fma_f64 v[34:35], v[34:35], 2.0, -v[38:39]
	v_fma_f64 v[32:33], v[32:33], 2.0, -v[36:37]
	;; [unrolled: 1-line block ×4, first 2 shown]
	ds_write_b128 v158, v[36:39] offset:32
	ds_write_b128 v158, v[32:35]
	ds_write_b128 v158, v[40:43] offset:16
	ds_write_b128 v158, v[44:47] offset:48
.LBB0_7:
	s_or_b64 exec, exec, s[2:3]
	v_mov_b32_e32 v77, s5
	v_and_b32_e32 v78, 3, v155
	s_movk_i32 s12, 0x90
	v_mov_b32_e32 v76, s4
	v_mad_u64_u32 v[79:80], s[2:3], v78, s12, v[76:77]
	s_waitcnt lgkmcnt(0)
	s_barrier
	global_load_dwordx4 v[56:59], v[79:80], off
	global_load_dwordx4 v[48:51], v[79:80], off offset:16
	global_load_dwordx4 v[40:43], v[79:80], off offset:32
	;; [unrolled: 1-line block ×8, first 2 shown]
	ds_read_b128 v[79:82], v156
	ds_read_b128 v[83:86], v156 offset:640
	ds_read_b128 v[87:90], v156 offset:1280
	;; [unrolled: 1-line block ×9, first 2 shown]
	s_mov_b32 s2, 0x134454ff
	s_mov_b32 s3, 0x3fee6f0e
	;; [unrolled: 1-line block ×12, first 2 shown]
	s_waitcnt vmcnt(0) lgkmcnt(0)
	s_barrier
	v_mul_f64 v[119:120], v[85:86], v[58:59]
	v_mul_f64 v[123:124], v[89:90], v[50:51]
	;; [unrolled: 1-line block ×13, first 2 shown]
	v_fma_f64 v[87:88], v[87:88], v[48:49], -v[123:124]
	v_fma_f64 v[89:90], v[89:90], v[48:49], v[125:126]
	v_fma_f64 v[95:96], v[95:96], v[32:33], -v[131:132]
	v_fma_f64 v[97:98], v[97:98], v[32:33], v[133:134]
	;; [unrolled: 2-line block ×3, first 2 shown]
	v_fma_f64 v[111:112], v[111:112], v[64:65], -v[147:148]
	v_mul_f64 v[127:128], v[93:94], v[42:43]
	v_mul_f64 v[129:130], v[91:92], v[42:43]
	;; [unrolled: 1-line block ×4, first 2 shown]
	v_fma_f64 v[83:84], v[83:84], v[56:57], -v[119:120]
	v_fma_f64 v[85:86], v[85:86], v[56:57], v[121:122]
	v_fma_f64 v[99:100], v[99:100], v[68:69], -v[135:136]
	v_fma_f64 v[101:102], v[101:102], v[68:69], v[137:138]
	v_fma_f64 v[113:114], v[113:114], v[64:65], v[149:150]
	v_fma_f64 v[107:108], v[107:108], v[52:53], -v[143:144]
	v_add_f64 v[119:120], v[79:80], v[87:88]
	v_add_f64 v[121:122], v[95:96], v[103:104]
	;; [unrolled: 1-line block ×5, first 2 shown]
	v_mul_f64 v[162:163], v[117:118], v[74:75]
	v_fma_f64 v[91:92], v[91:92], v[40:41], -v[127:128]
	v_fma_f64 v[93:94], v[93:94], v[40:41], v[129:130]
	v_fma_f64 v[109:110], v[109:110], v[52:53], v[145:146]
	;; [unrolled: 1-line block ×3, first 2 shown]
	v_add_f64 v[123:124], v[89:90], -v[113:114]
	v_add_f64 v[125:126], v[97:98], -v[105:106]
	;; [unrolled: 1-line block ×8, first 2 shown]
	v_add_f64 v[143:144], v[89:90], v[113:114]
	v_add_f64 v[145:146], v[89:90], -v[97:98]
	v_add_f64 v[89:90], v[97:98], -v[89:90]
	v_add_f64 v[164:165], v[99:100], v[107:108]
	v_fma_f64 v[121:122], v[121:122], -0.5, v[79:80]
	v_fma_f64 v[79:80], v[131:132], -0.5, v[79:80]
	v_fma_f64 v[131:132], v[139:140], -0.5, v[81:82]
	v_add_f64 v[95:96], v[119:120], v[95:96]
	v_add_f64 v[97:98], v[137:138], v[97:98]
	v_fma_f64 v[115:116], v[115:116], v[72:73], -v[162:163]
	v_add_f64 v[147:148], v[113:114], -v[105:106]
	v_add_f64 v[149:150], v[105:106], -v[113:114]
	v_add_f64 v[162:163], v[83:84], v[91:92]
	v_add_f64 v[166:167], v[93:94], -v[117:118]
	v_fma_f64 v[81:82], v[143:144], -0.5, v[81:82]
	v_add_f64 v[119:120], v[127:128], v[129:130]
	v_add_f64 v[127:128], v[133:134], v[135:136]
	v_fma_f64 v[135:136], v[164:165], -0.5, v[83:84]
	v_add_f64 v[95:96], v[95:96], v[103:104]
	v_fma_f64 v[103:104], v[123:124], s[2:3], v[121:122]
	v_fma_f64 v[121:122], v[123:124], s[16:17], v[121:122]
	v_add_f64 v[97:98], v[97:98], v[105:106]
	v_fma_f64 v[105:106], v[125:126], s[16:17], v[79:80]
	v_fma_f64 v[79:80], v[125:126], s[2:3], v[79:80]
	;; [unrolled: 1-line block ×4, first 2 shown]
	v_add_f64 v[168:169], v[101:102], -v[109:110]
	v_add_f64 v[170:171], v[91:92], -v[99:100]
	v_add_f64 v[172:173], v[115:116], -v[107:108]
	v_add_f64 v[174:175], v[91:92], v[115:116]
	v_add_f64 v[129:130], v[145:146], v[147:148]
	;; [unrolled: 1-line block ×3, first 2 shown]
	v_fma_f64 v[139:140], v[141:142], s[2:3], v[81:82]
	v_fma_f64 v[81:82], v[141:142], s[16:17], v[81:82]
	;; [unrolled: 1-line block ×3, first 2 shown]
	v_add_f64 v[111:112], v[95:96], v[111:112]
	v_fma_f64 v[95:96], v[125:126], s[4:5], v[103:104]
	v_fma_f64 v[103:104], v[125:126], s[18:19], v[121:122]
	;; [unrolled: 1-line block ×5, first 2 shown]
	v_add_f64 v[113:114], v[97:98], v[113:114]
	v_fma_f64 v[97:98], v[141:142], s[4:5], v[131:132]
	v_fma_f64 v[123:124], v[87:88], s[18:19], v[139:140]
	;; [unrolled: 1-line block ×3, first 2 shown]
	v_fma_f64 v[83:84], v[174:175], -0.5, v[83:84]
	v_fma_f64 v[105:106], v[127:128], s[14:15], v[105:106]
	v_fma_f64 v[127:128], v[127:128], s[14:15], v[79:80]
	;; [unrolled: 1-line block ×3, first 2 shown]
	v_add_f64 v[79:80], v[89:90], v[149:150]
	v_fma_f64 v[129:130], v[129:130], s[14:15], v[97:98]
	v_fma_f64 v[81:82], v[87:88], s[4:5], v[81:82]
	v_add_f64 v[87:88], v[133:134], v[107:108]
	v_fma_f64 v[89:90], v[168:169], s[4:5], v[143:144]
	v_add_f64 v[95:96], v[170:171], v[172:173]
	v_add_f64 v[97:98], v[101:102], v[109:110]
	v_fma_f64 v[119:120], v[119:120], s[14:15], v[103:104]
	v_fma_f64 v[123:124], v[79:80], s[14:15], v[123:124]
	;; [unrolled: 1-line block ×5, first 2 shown]
	v_add_f64 v[135:136], v[87:88], v[115:116]
	v_add_f64 v[79:80], v[93:94], v[117:118]
	v_fma_f64 v[81:82], v[95:96], s[14:15], v[89:90]
	v_fma_f64 v[87:88], v[97:98], -0.5, v[85:86]
	v_add_f64 v[89:90], v[91:92], -v[115:116]
	v_fma_f64 v[97:98], v[168:169], s[18:19], v[103:104]
	v_fma_f64 v[103:104], v[166:167], s[4:5], v[131:132]
	v_add_f64 v[131:132], v[85:86], v[93:94]
	v_add_f64 v[137:138], v[99:100], -v[107:108]
	v_fma_f64 v[79:80], v[79:80], -0.5, v[85:86]
	v_add_f64 v[85:86], v[99:100], -v[91:92]
	v_add_f64 v[91:92], v[107:108], -v[115:116]
	v_fma_f64 v[99:100], v[89:90], s[16:17], v[87:88]
	v_add_f64 v[107:108], v[93:94], -v[101:102]
	v_add_f64 v[115:116], v[117:118], -v[109:110]
	v_fma_f64 v[83:84], v[168:169], s[2:3], v[83:84]
	v_fma_f64 v[87:88], v[89:90], s[2:3], v[87:88]
	v_add_f64 v[131:132], v[131:132], v[101:102]
	v_fma_f64 v[139:140], v[137:138], s[2:3], v[79:80]
	v_add_f64 v[93:94], v[101:102], -v[93:94]
	v_fma_f64 v[99:100], v[137:138], s[18:19], v[99:100]
	v_add_f64 v[101:102], v[109:110], -v[117:118]
	v_add_f64 v[107:108], v[107:108], v[115:116]
	v_fma_f64 v[79:80], v[137:138], s[16:17], v[79:80]
	v_add_f64 v[85:86], v[85:86], v[91:92]
	v_fma_f64 v[83:84], v[166:167], s[18:19], v[83:84]
	v_fma_f64 v[87:88], v[137:138], s[4:5], v[87:88]
	;; [unrolled: 1-line block ×3, first 2 shown]
	v_add_f64 v[93:94], v[93:94], v[101:102]
	v_fma_f64 v[99:100], v[107:108], s[14:15], v[99:100]
	v_fma_f64 v[79:80], v[89:90], s[4:5], v[79:80]
	;; [unrolled: 1-line block ×6, first 2 shown]
	v_add_f64 v[101:102], v[131:132], v[109:110]
	v_fma_f64 v[91:92], v[93:94], s[14:15], v[91:92]
	v_mul_f64 v[87:88], v[99:100], s[4:5]
	v_fma_f64 v[93:94], v[93:94], s[14:15], v[79:80]
	v_mul_f64 v[107:108], v[89:90], s[20:21]
	v_add_f64 v[79:80], v[111:112], v[135:136]
	v_mul_f64 v[103:104], v[85:86], s[14:15]
	v_add_f64 v[101:102], v[101:102], v[117:118]
	v_mul_f64 v[97:98], v[91:92], s[2:3]
	v_fma_f64 v[109:110], v[81:82], s[20:21], v[87:88]
	v_mul_f64 v[81:82], v[81:82], s[18:19]
	v_mul_f64 v[87:88], v[95:96], s[16:17]
	;; [unrolled: 1-line block ×4, first 2 shown]
	v_fma_f64 v[137:138], v[93:94], s[2:3], -v[103:104]
	v_fma_f64 v[139:140], v[83:84], s[4:5], -v[107:108]
	v_fma_f64 v[131:132], v[95:96], s[14:15], v[97:98]
	v_add_f64 v[83:84], v[125:126], v[109:110]
	v_fma_f64 v[141:142], v[99:100], s[20:21], v[81:82]
	v_fma_f64 v[143:144], v[91:92], s[14:15], v[87:88]
	v_fma_f64 v[145:146], v[85:86], s[16:17], -v[115:116]
	v_fma_f64 v[117:118], v[89:90], s[18:19], -v[117:118]
	v_add_f64 v[81:82], v[113:114], v[101:102]
	v_add_f64 v[91:92], v[127:128], v[137:138]
	v_add_f64 v[87:88], v[105:106], v[131:132]
	v_add_f64 v[95:96], v[119:120], v[139:140]
	v_add_f64 v[85:86], v[121:122], v[141:142]
	v_add_f64 v[89:90], v[123:124], v[143:144]
	v_add_f64 v[93:94], v[133:134], v[145:146]
	v_add_f64 v[97:98], v[129:130], v[117:118]
	v_add_f64 v[115:116], v[119:120], -v[139:140]
	v_lshrrev_b32_e32 v119, 2, v155
	v_add_f64 v[99:100], v[111:112], -v[135:136]
	v_add_f64 v[101:102], v[113:114], -v[101:102]
	v_mul_u32_u24_e32 v119, 40, v119
	v_add_f64 v[103:104], v[125:126], -v[109:110]
	v_add_f64 v[107:108], v[105:106], -v[131:132]
	;; [unrolled: 1-line block ×3, first 2 shown]
	v_or_b32_e32 v78, v119, v78
	v_add_f64 v[111:112], v[127:128], -v[137:138]
	v_add_f64 v[109:110], v[123:124], -v[143:144]
	;; [unrolled: 1-line block ×3, first 2 shown]
	v_lshl_add_u32 v160, v78, 4, v157
	v_add_f64 v[117:118], v[129:130], -v[117:118]
	ds_write_b128 v160, v[79:82]
	ds_write_b128 v160, v[83:86] offset:64
	ds_write_b128 v160, v[87:90] offset:128
	;; [unrolled: 1-line block ×9, first 2 shown]
	v_mad_u64_u32 v[112:113], s[22:23], v155, s12, v[76:77]
	s_waitcnt lgkmcnt(0)
	s_barrier
	global_load_dwordx4 v[88:91], v[112:113], off offset:576
	global_load_dwordx4 v[84:87], v[112:113], off offset:592
	;; [unrolled: 1-line block ×9, first 2 shown]
	ds_read_b128 v[112:115], v156 offset:640
	ds_read_b128 v[116:119], v156 offset:1280
	;; [unrolled: 1-line block ×3, first 2 shown]
	ds_read_b128 v[124:127], v156
	ds_read_b128 v[128:131], v156 offset:2560
	ds_read_b128 v[132:135], v156 offset:3200
	s_waitcnt vmcnt(8) lgkmcnt(5)
	v_mul_f64 v[136:137], v[114:115], v[90:91]
	v_mul_f64 v[138:139], v[112:113], v[90:91]
	s_waitcnt vmcnt(7) lgkmcnt(4)
	v_mul_f64 v[140:141], v[118:119], v[86:87]
	v_mul_f64 v[142:143], v[116:117], v[86:87]
	;; [unrolled: 3-line block ×4, first 2 shown]
	v_fma_f64 v[136:137], v[112:113], v[88:89], -v[136:137]
	v_fma_f64 v[138:139], v[114:115], v[88:89], v[138:139]
	v_fma_f64 v[140:141], v[116:117], v[84:85], -v[140:141]
	v_fma_f64 v[142:143], v[118:119], v[84:85], v[142:143]
	ds_read_b128 v[112:115], v156 offset:3840
	ds_read_b128 v[116:119], v156 offset:4480
	v_fma_f64 v[144:145], v[120:121], v[80:81], -v[144:145]
	v_fma_f64 v[146:147], v[122:123], v[80:81], v[146:147]
	ds_read_b128 v[120:123], v156 offset:5120
	s_waitcnt vmcnt(4) lgkmcnt(3)
	v_mul_f64 v[162:163], v[134:135], v[102:103]
	v_fma_f64 v[148:149], v[128:129], v[76:77], -v[148:149]
	v_fma_f64 v[150:151], v[130:131], v[76:77], v[150:151]
	ds_read_b128 v[128:131], v156 offset:5760
	s_waitcnt vmcnt(3) lgkmcnt(3)
	v_mul_f64 v[166:167], v[114:115], v[94:95]
	s_waitcnt vmcnt(2) lgkmcnt(1)
	v_mul_f64 v[170:171], v[122:123], v[106:107]
	v_mul_f64 v[164:165], v[132:133], v[102:103]
	;; [unrolled: 1-line block ×3, first 2 shown]
	s_waitcnt vmcnt(1)
	v_mul_f64 v[172:173], v[118:119], v[98:99]
	v_mul_f64 v[174:175], v[116:117], v[98:99]
	;; [unrolled: 1-line block ×3, first 2 shown]
	v_fma_f64 v[132:133], v[132:133], v[100:101], -v[162:163]
	v_fma_f64 v[112:113], v[112:113], v[92:93], -v[166:167]
	;; [unrolled: 1-line block ×3, first 2 shown]
	v_fma_f64 v[134:135], v[134:135], v[100:101], v[164:165]
	v_fma_f64 v[114:115], v[114:115], v[92:93], v[168:169]
	v_fma_f64 v[116:117], v[116:117], v[96:97], -v[172:173]
	v_fma_f64 v[118:119], v[118:119], v[96:97], v[174:175]
	v_fma_f64 v[164:165], v[122:123], v[104:105], v[176:177]
	s_waitcnt vmcnt(0) lgkmcnt(0)
	v_mul_f64 v[122:123], v[130:131], v[110:111]
	v_mul_f64 v[166:167], v[128:129], v[110:111]
	v_add_f64 v[168:169], v[148:149], v[112:113]
	v_add_f64 v[170:171], v[140:141], v[162:163]
	;; [unrolled: 1-line block ×6, first 2 shown]
	v_fma_f64 v[128:129], v[128:129], v[108:109], -v[122:123]
	v_fma_f64 v[130:131], v[130:131], v[108:109], v[166:167]
	v_fma_f64 v[166:167], v[168:169], -0.5, v[124:125]
	v_fma_f64 v[168:169], v[170:171], -0.5, v[124:125]
	v_add_f64 v[122:123], v[172:173], v[150:151]
	v_add_f64 v[124:125], v[174:175], v[132:133]
	;; [unrolled: 1-line block ×6, first 2 shown]
	v_add_f64 v[182:183], v[144:145], -v[128:129]
	v_add_f64 v[184:185], v[146:147], -v[130:131]
	v_add_f64 v[208:209], v[146:147], v[130:131]
	v_add_f64 v[176:177], v[150:151], v[114:115]
	v_fma_f64 v[172:173], v[172:173], -0.5, v[136:137]
	v_fma_f64 v[174:175], v[174:175], -0.5, v[138:139]
	v_add_f64 v[120:121], v[120:121], v[112:113]
	v_add_f64 v[178:179], v[142:143], v[164:165]
	;; [unrolled: 1-line block ×5, first 2 shown]
	v_add_f64 v[188:189], v[146:147], -v[134:135]
	v_add_f64 v[190:191], v[130:131], -v[118:119]
	;; [unrolled: 1-line block ×3, first 2 shown]
	v_fma_f64 v[194:195], v[182:183], s[16:17], v[174:175]
	v_fma_f64 v[196:197], v[184:185], s[2:3], v[172:173]
	v_add_f64 v[198:199], v[134:135], -v[118:119]
	v_add_f64 v[210:211], v[144:145], v[128:129]
	v_fma_f64 v[138:139], v[208:209], -0.5, v[138:139]
	v_add_f64 v[180:181], v[120:121], v[162:163]
	v_add_f64 v[186:187], v[122:123], v[164:165]
	v_add_f64 v[120:121], v[144:145], -v[132:133]
	v_add_f64 v[122:123], v[128:129], -v[116:117]
	v_add_f64 v[124:125], v[124:125], v[128:129]
	v_add_f64 v[170:171], v[170:171], v[130:131]
	v_fma_f64 v[176:177], v[176:177], -0.5, v[126:127]
	v_fma_f64 v[178:179], v[178:179], -0.5, v[126:127]
	v_add_f64 v[188:189], v[188:189], v[190:191]
	v_fma_f64 v[126:127], v[192:193], s[18:19], v[194:195]
	v_fma_f64 v[190:191], v[198:199], s[4:5], v[196:197]
	v_add_f64 v[194:195], v[140:141], -v[148:149]
	v_add_f64 v[196:197], v[162:163], -v[112:113]
	;; [unrolled: 1-line block ×4, first 2 shown]
	v_fma_f64 v[136:137], v[210:211], -0.5, v[136:137]
	v_add_f64 v[116:117], v[116:117], -v[128:129]
	v_add_f64 v[128:129], v[134:135], -v[146:147]
	;; [unrolled: 1-line block ×3, first 2 shown]
	v_fma_f64 v[130:131], v[192:193], s[2:3], v[138:139]
	v_add_f64 v[200:201], v[120:121], v[122:123]
	v_add_f64 v[120:121], v[180:181], v[124:125]
	;; [unrolled: 1-line block ×3, first 2 shown]
	v_fma_f64 v[206:207], v[188:189], s[14:15], v[126:127]
	v_add_f64 v[124:125], v[180:181], -v[124:125]
	v_add_f64 v[126:127], v[186:187], -v[170:171]
	v_add_f64 v[170:171], v[194:195], v[196:197]
	v_add_f64 v[180:181], v[202:203], v[204:205]
	v_add_f64 v[196:197], v[142:143], -v[164:165]
	v_add_f64 v[202:203], v[140:141], -v[162:163]
	v_add_f64 v[132:133], v[132:133], -v[144:145]
	v_fma_f64 v[134:135], v[198:199], s[16:17], v[136:137]
	v_add_f64 v[118:119], v[128:129], v[118:119]
	v_fma_f64 v[128:129], v[182:183], s[18:19], v[130:131]
	v_fma_f64 v[190:191], v[200:201], s[14:15], v[190:191]
	v_mul_f64 v[186:187], v[206:207], s[4:5]
	v_fma_f64 v[144:145], v[196:197], s[2:3], v[166:167]
	v_add_f64 v[146:147], v[150:151], -v[114:115]
	v_add_f64 v[204:205], v[148:149], -v[112:113]
	v_fma_f64 v[208:209], v[202:203], s[16:17], v[176:177]
	v_add_f64 v[116:117], v[132:133], v[116:117]
	v_fma_f64 v[130:131], v[184:185], s[4:5], v[134:135]
	v_add_f64 v[140:141], v[148:149], -v[140:141]
	v_fma_f64 v[148:149], v[118:119], s[14:15], v[128:129]
	v_mul_f64 v[194:195], v[190:191], s[18:19]
	v_fma_f64 v[132:133], v[190:191], s[20:21], v[186:187]
	v_fma_f64 v[144:145], v[146:147], s[4:5], v[144:145]
	;; [unrolled: 1-line block ×3, first 2 shown]
	v_add_f64 v[112:113], v[112:113], -v[162:163]
	v_fma_f64 v[162:163], v[116:117], s[14:15], v[130:131]
	v_add_f64 v[114:115], v[114:115], -v[164:165]
	v_mul_f64 v[164:165], v[148:149], s[2:3]
	v_fma_f64 v[134:135], v[206:207], s[20:21], v[194:195]
	v_add_f64 v[128:129], v[150:151], -v[142:143]
	v_fma_f64 v[130:131], v[146:147], s[16:17], v[168:169]
	v_fma_f64 v[144:145], v[170:171], s[14:15], v[144:145]
	v_fma_f64 v[150:151], v[180:181], s[14:15], v[186:187]
	v_fma_f64 v[136:137], v[198:199], s[2:3], v[136:137]
	v_fma_f64 v[138:139], v[192:193], s[16:17], v[138:139]
	v_mul_f64 v[186:187], v[162:163], s[16:17]
	v_fma_f64 v[162:163], v[162:163], s[14:15], v[164:165]
	v_fma_f64 v[164:165], v[184:185], s[16:17], v[172:173]
	;; [unrolled: 1-line block ×3, first 2 shown]
	v_add_f64 v[112:113], v[140:141], v[112:113]
	v_add_f64 v[114:115], v[128:129], v[114:115]
	v_fma_f64 v[140:141], v[196:197], s[4:5], v[130:131]
	v_add_f64 v[128:129], v[144:145], v[132:133]
	v_add_f64 v[130:131], v[150:151], v[134:135]
	v_add_f64 v[132:133], v[144:145], -v[132:133]
	v_add_f64 v[134:135], v[150:151], -v[134:135]
	v_fma_f64 v[144:145], v[184:185], s[18:19], v[136:137]
	v_fma_f64 v[150:151], v[182:183], s[4:5], v[138:139]
	;; [unrolled: 1-line block ×17, first 2 shown]
	v_mul_f64 v[174:175], v[116:117], s[14:15]
	v_mul_f64 v[176:177], v[118:119], s[14:15]
	v_fma_f64 v[144:145], v[146:147], s[18:19], v[144:145]
	v_fma_f64 v[146:147], v[204:205], s[4:5], v[150:151]
	v_mul_f64 v[150:151], v[164:165], s[20:21]
	v_mul_f64 v[178:179], v[166:167], s[20:21]
	v_fma_f64 v[140:141], v[112:113], s[14:15], v[140:141]
	v_fma_f64 v[142:143], v[114:115], s[14:15], v[142:143]
	;; [unrolled: 1-line block ×4, first 2 shown]
	v_fma_f64 v[118:119], v[118:119], s[2:3], -v[174:175]
	v_fma_f64 v[116:117], v[116:117], s[16:17], -v[176:177]
	v_fma_f64 v[168:169], v[170:171], s[14:15], v[144:145]
	v_fma_f64 v[170:171], v[180:181], s[14:15], v[146:147]
	v_fma_f64 v[166:167], v[166:167], s[4:5], -v[150:151]
	v_fma_f64 v[164:165], v[164:165], s[18:19], -v[178:179]
	v_add_f64 v[136:137], v[140:141], v[162:163]
	v_add_f64 v[138:139], v[142:143], v[148:149]
	;; [unrolled: 1-line block ×4, first 2 shown]
	v_add_f64 v[142:143], v[142:143], -v[148:149]
	ds_write_b128 v156, v[120:123]
	v_add_f64 v[148:149], v[168:169], v[166:167]
	v_add_f64 v[150:151], v[170:171], v[164:165]
	v_mov_b32_e32 v120, s13
	v_add_f64 v[140:141], v[140:141], -v[162:163]
	v_addc_co_u32_e64 v162, s[0:1], 0, v120, s[0:1]
	s_movk_i32 s4, 0x1000
	v_add_co_u32_e64 v120, s[0:1], s4, v152
	v_addc_co_u32_e64 v121, s[0:1], 0, v162, s[0:1]
	v_add_f64 v[112:113], v[112:113], -v[118:119]
	v_add_f64 v[114:115], v[114:115], -v[116:117]
	s_movk_i32 s0, 0x1900
	v_add_f64 v[116:117], v[168:169], -v[166:167]
	v_add_f64 v[118:119], v[170:171], -v[164:165]
	ds_write_b128 v156, v[128:131] offset:640
	ds_write_b128 v156, v[136:139] offset:1280
	ds_write_b128 v156, v[144:147] offset:1920
	ds_write_b128 v156, v[148:151] offset:2560
	ds_write_b128 v156, v[124:127] offset:3200
	ds_write_b128 v156, v[132:135] offset:3840
	ds_write_b128 v156, v[140:143] offset:4480
	ds_write_b128 v156, v[112:115] offset:5120
	ds_write_b128 v156, v[116:119] offset:5760
	s_waitcnt lgkmcnt(0)
	s_barrier
	global_load_dwordx4 v[122:125], v[120:121], off offset:2304
	v_add_co_u32_e64 v120, s[0:1], s0, v152
	v_addc_co_u32_e64 v121, s[0:1], 0, v162, s[0:1]
	global_load_dwordx4 v[126:129], v[120:121], off offset:1600
	global_load_dwordx4 v[130:133], v[120:121], off offset:3200
	s_movk_i32 s0, 0x2000
	v_add_co_u32_e64 v150, s[0:1], s0, v152
	v_addc_co_u32_e64 v151, s[0:1], 0, v162, s[0:1]
	global_load_dwordx4 v[134:137], v[150:151], off offset:3008
	global_load_dwordx4 v[138:141], v[120:121], off offset:640
	;; [unrolled: 1-line block ×5, first 2 shown]
	ds_read_b128 v[166:169], v156
	ds_read_b128 v[170:173], v156 offset:640
	ds_read_b128 v[174:177], v156 offset:1600
	;; [unrolled: 1-line block ×7, first 2 shown]
	s_waitcnt vmcnt(7) lgkmcnt(7)
	v_mul_f64 v[150:151], v[168:169], v[124:125]
	v_mul_f64 v[124:125], v[166:167], v[124:125]
	s_waitcnt vmcnt(6) lgkmcnt(5)
	v_mul_f64 v[198:199], v[176:177], v[128:129]
	v_mul_f64 v[128:129], v[174:175], v[128:129]
	;; [unrolled: 3-line block ×4, first 2 shown]
	v_fma_f64 v[166:167], v[166:167], v[122:123], -v[150:151]
	v_fma_f64 v[168:169], v[168:169], v[122:123], v[124:125]
	v_fma_f64 v[122:123], v[174:175], v[126:127], -v[198:199]
	v_fma_f64 v[124:125], v[176:177], v[126:127], v[128:129]
	;; [unrolled: 2-line block ×4, first 2 shown]
	s_waitcnt vmcnt(3)
	v_mul_f64 v[134:135], v[172:173], v[140:141]
	v_mul_f64 v[136:137], v[170:171], v[140:141]
	s_waitcnt vmcnt(2)
	v_mul_f64 v[140:141], v[180:181], v[144:145]
	v_mul_f64 v[144:145], v[178:179], v[144:145]
	s_waitcnt vmcnt(1) lgkmcnt(1)
	v_mul_f64 v[150:151], v[192:193], v[148:149]
	v_mul_f64 v[148:149], v[190:191], v[148:149]
	s_waitcnt vmcnt(0) lgkmcnt(0)
	v_mul_f64 v[174:175], v[196:197], v[164:165]
	v_mul_f64 v[164:165], v[194:195], v[164:165]
	v_fma_f64 v[134:135], v[170:171], v[138:139], -v[134:135]
	v_fma_f64 v[136:137], v[172:173], v[138:139], v[136:137]
	v_fma_f64 v[138:139], v[178:179], v[142:143], -v[140:141]
	v_fma_f64 v[140:141], v[180:181], v[142:143], v[144:145]
	v_fma_f64 v[142:143], v[190:191], v[146:147], -v[150:151]
	v_fma_f64 v[144:145], v[192:193], v[146:147], v[148:149]
	v_fma_f64 v[146:147], v[194:195], v[162:163], -v[174:175]
	v_fma_f64 v[148:149], v[196:197], v[162:163], v[164:165]
	ds_write_b128 v156, v[166:169]
	ds_write_b128 v156, v[122:125] offset:1600
	ds_write_b128 v156, v[126:129] offset:3200
	;; [unrolled: 1-line block ×7, first 2 shown]
	s_and_saveexec_b64 s[2:3], vcc
	s_cbranch_execz .LBB0_9
; %bb.8:
	global_load_dwordx4 v[122:125], v[120:121], off offset:1280
	global_load_dwordx4 v[126:129], v[120:121], off offset:2880
	v_add_co_u32_e64 v120, s[0:1], s4, v120
	v_addc_co_u32_e64 v121, s[0:1], 0, v121, s[0:1]
	global_load_dwordx4 v[130:133], v[120:121], off offset:384
	global_load_dwordx4 v[134:137], v[120:121], off offset:1984
	ds_read_b128 v[138:141], v156 offset:1280
	ds_read_b128 v[142:145], v156 offset:2880
	;; [unrolled: 1-line block ×4, first 2 shown]
	s_waitcnt vmcnt(3) lgkmcnt(3)
	v_mul_f64 v[120:121], v[140:141], v[124:125]
	v_mul_f64 v[124:125], v[138:139], v[124:125]
	s_waitcnt vmcnt(2) lgkmcnt(2)
	v_mul_f64 v[150:151], v[144:145], v[128:129]
	v_mul_f64 v[128:129], v[142:143], v[128:129]
	;; [unrolled: 3-line block ×4, first 2 shown]
	v_fma_f64 v[120:121], v[138:139], v[122:123], -v[120:121]
	v_fma_f64 v[122:123], v[140:141], v[122:123], v[124:125]
	v_fma_f64 v[124:125], v[142:143], v[126:127], -v[150:151]
	v_fma_f64 v[126:127], v[144:145], v[126:127], v[128:129]
	;; [unrolled: 2-line block ×4, first 2 shown]
	ds_write_b128 v156, v[120:123] offset:1280
	ds_write_b128 v156, v[124:127] offset:2880
	;; [unrolled: 1-line block ×4, first 2 shown]
.LBB0_9:
	s_or_b64 exec, exec, s[2:3]
	s_waitcnt lgkmcnt(0)
	s_barrier
	ds_read_b128 v[120:123], v156
	ds_read_b128 v[124:127], v156 offset:640
	ds_read_b128 v[132:135], v156 offset:1600
	;; [unrolled: 1-line block ×7, first 2 shown]
	v_add_u32_e32 v161, 0xa00, v161
	s_and_saveexec_b64 s[0:1], vcc
	s_cbranch_execz .LBB0_11
; %bb.10:
	v_lshl_add_u32 v44, v155, 4, v157
	ds_read_b128 v[112:115], v156 offset:1280
	ds_read_b128 v[36:39], v156 offset:4480
	;; [unrolled: 1-line block ×4, first 2 shown]
.LBB0_11:
	s_or_b64 exec, exec, s[0:1]
	s_waitcnt lgkmcnt(3)
	v_add_f64 v[148:149], v[120:121], -v[148:149]
	v_add_f64 v[150:151], v[122:123], -v[150:151]
	s_waitcnt lgkmcnt(1)
	v_add_f64 v[144:145], v[132:133], -v[144:145]
	v_add_f64 v[146:147], v[134:135], -v[146:147]
	;; [unrolled: 1-line block ×4, first 2 shown]
	s_waitcnt lgkmcnt(0)
	v_add_f64 v[136:137], v[128:129], -v[136:137]
	v_add_f64 v[138:139], v[130:131], -v[138:139]
	v_fma_f64 v[140:141], v[120:121], 2.0, -v[148:149]
	v_fma_f64 v[142:143], v[122:123], 2.0, -v[150:151]
	;; [unrolled: 1-line block ×8, first 2 shown]
	v_add_f64 v[124:125], v[148:149], v[146:147]
	v_add_f64 v[126:127], v[150:151], -v[144:145]
	v_add_f64 v[120:121], v[140:141], -v[120:121]
	;; [unrolled: 1-line block ×3, first 2 shown]
	v_add_f64 v[132:133], v[162:163], v[138:139]
	v_add_f64 v[134:135], v[164:165], -v[136:137]
	v_add_f64 v[128:129], v[166:167], -v[128:129]
	;; [unrolled: 1-line block ×3, first 2 shown]
	s_barrier
	v_fma_f64 v[136:137], v[140:141], 2.0, -v[120:121]
	v_fma_f64 v[138:139], v[142:143], 2.0, -v[122:123]
	;; [unrolled: 1-line block ×8, first 2 shown]
	ds_write_b128 v159, v[136:139]
	ds_write_b128 v159, v[140:143] offset:16
	ds_write_b128 v159, v[120:123] offset:32
	;; [unrolled: 1-line block ×3, first 2 shown]
	ds_write_b128 v161, v[144:147]
	ds_write_b128 v161, v[148:151] offset:16
	ds_write_b128 v161, v[128:131] offset:32
	;; [unrolled: 1-line block ×3, first 2 shown]
	s_and_saveexec_b64 s[0:1], vcc
	s_cbranch_execz .LBB0_13
; %bb.12:
	v_add_f64 v[120:121], v[114:115], -v[38:39]
	v_add_f64 v[46:47], v[118:119], -v[46:47]
	;; [unrolled: 1-line block ×4, first 2 shown]
	v_fma_f64 v[124:125], v[114:115], 2.0, -v[120:121]
	v_fma_f64 v[44:45], v[118:119], 2.0, -v[46:47]
	;; [unrolled: 1-line block ×4, first 2 shown]
	v_add_f64 v[38:39], v[120:121], -v[36:37]
	v_add_f64 v[36:37], v[122:123], v[46:47]
	v_add_f64 v[46:47], v[124:125], -v[44:45]
	v_add_f64 v[44:45], v[126:127], -v[112:113]
	v_fma_f64 v[114:115], v[120:121], 2.0, -v[38:39]
	v_fma_f64 v[112:113], v[122:123], 2.0, -v[36:37]
	;; [unrolled: 1-line block ×4, first 2 shown]
	ds_write_b128 v158, v[112:115] offset:16
	ds_write_b128 v158, v[44:47] offset:32
	ds_write_b128 v158, v[116:119]
	ds_write_b128 v158, v[36:39] offset:48
.LBB0_13:
	s_or_b64 exec, exec, s[0:1]
	s_waitcnt lgkmcnt(0)
	s_barrier
	ds_read_b128 v[36:39], v156
	ds_read_b128 v[44:47], v156 offset:640
	ds_read_b128 v[112:115], v156 offset:1280
	;; [unrolled: 1-line block ×5, first 2 shown]
	s_waitcnt lgkmcnt(4)
	v_mul_f64 v[144:145], v[58:59], v[46:47]
	v_mul_f64 v[58:59], v[58:59], v[44:45]
	s_waitcnt lgkmcnt(3)
	v_mul_f64 v[146:147], v[50:51], v[114:115]
	v_mul_f64 v[50:51], v[50:51], v[112:113]
	ds_read_b128 v[128:131], v156 offset:3840
	ds_read_b128 v[132:135], v156 offset:4480
	;; [unrolled: 1-line block ×4, first 2 shown]
	s_mov_b32 s0, 0x134454ff
	s_mov_b32 s1, 0xbfee6f0e
	v_fma_f64 v[44:45], v[56:57], v[44:45], v[144:145]
	v_fma_f64 v[46:47], v[56:57], v[46:47], -v[58:59]
	s_waitcnt lgkmcnt(6)
	v_mul_f64 v[56:57], v[42:43], v[118:119]
	v_mul_f64 v[42:43], v[42:43], v[116:117]
	v_fma_f64 v[58:59], v[48:49], v[112:113], v[146:147]
	s_waitcnt lgkmcnt(5)
	v_mul_f64 v[112:113], v[34:35], v[122:123]
	v_fma_f64 v[48:49], v[48:49], v[114:115], -v[50:51]
	v_mul_f64 v[34:35], v[34:35], v[120:121]
	s_waitcnt lgkmcnt(4)
	v_mul_f64 v[50:51], v[70:71], v[126:127]
	s_waitcnt lgkmcnt(3)
	v_mul_f64 v[114:115], v[62:63], v[130:131]
	v_fma_f64 v[56:57], v[40:41], v[116:117], v[56:57]
	v_fma_f64 v[40:41], v[40:41], v[118:119], -v[42:43]
	v_mul_f64 v[42:43], v[70:71], v[124:125]
	v_fma_f64 v[70:71], v[32:33], v[120:121], v[112:113]
	v_add_f64 v[112:113], v[36:37], v[58:59]
	v_fma_f64 v[32:33], v[32:33], v[122:123], -v[34:35]
	v_fma_f64 v[34:35], v[68:69], v[124:125], v[50:51]
	v_fma_f64 v[50:51], v[60:61], v[128:129], v[114:115]
	s_waitcnt lgkmcnt(1)
	v_mul_f64 v[114:115], v[66:67], v[136:137]
	v_mul_f64 v[66:67], v[66:67], v[138:139]
	v_fma_f64 v[42:43], v[68:69], v[126:127], -v[42:43]
	v_mul_f64 v[62:63], v[62:63], v[128:129]
	v_add_f64 v[68:69], v[112:113], v[70:71]
	v_mul_f64 v[112:113], v[54:55], v[134:135]
	v_mul_f64 v[54:55], v[54:55], v[132:133]
	v_add_f64 v[116:117], v[70:71], v[50:51]
	v_fma_f64 v[114:115], v[64:65], v[138:139], -v[114:115]
	v_fma_f64 v[64:65], v[64:65], v[136:137], v[66:67]
	s_waitcnt lgkmcnt(0)
	v_mul_f64 v[66:67], v[74:75], v[142:143]
	v_mul_f64 v[74:75], v[74:75], v[140:141]
	v_fma_f64 v[60:61], v[60:61], v[130:131], -v[62:63]
	v_fma_f64 v[62:63], v[52:53], v[132:133], v[112:113]
	v_fma_f64 v[52:53], v[52:53], v[134:135], -v[54:55]
	v_fma_f64 v[112:113], v[116:117], -0.5, v[36:37]
	v_add_f64 v[116:117], v[48:49], -v[114:115]
	v_add_f64 v[120:121], v[58:59], -v[70:71]
	v_fma_f64 v[54:55], v[72:73], v[140:141], v[66:67]
	v_fma_f64 v[66:67], v[72:73], v[142:143], -v[74:75]
	v_add_f64 v[72:73], v[58:59], v[64:65]
	v_add_f64 v[118:119], v[32:33], -v[60:61]
	v_add_f64 v[122:123], v[64:65], -v[50:51]
	s_mov_b32 s12, 0x4755a5e
	v_fma_f64 v[74:75], v[116:117], s[0:1], v[112:113]
	s_mov_b32 s3, 0x3fee6f0e
	s_mov_b32 s2, s0
	;; [unrolled: 1-line block ×3, first 2 shown]
	v_fma_f64 v[112:113], v[116:117], s[2:3], v[112:113]
	v_fma_f64 v[36:37], v[72:73], -0.5, v[36:37]
	s_mov_b32 s5, 0x3fe2cf23
	s_mov_b32 s4, s12
	v_fma_f64 v[72:73], v[118:119], s[12:13], v[74:75]
	v_add_f64 v[74:75], v[120:121], v[122:123]
	v_add_f64 v[120:121], v[32:33], v[60:61]
	;; [unrolled: 1-line block ×3, first 2 shown]
	v_fma_f64 v[112:113], v[118:119], s[4:5], v[112:113]
	v_fma_f64 v[122:123], v[118:119], s[2:3], v[36:37]
	v_add_f64 v[124:125], v[70:71], -v[58:59]
	v_add_f64 v[126:127], v[50:51], -v[64:65]
	v_add_f64 v[128:129], v[38:39], v[48:49]
	v_add_f64 v[58:59], v[58:59], -v[64:65]
	v_fma_f64 v[120:121], v[120:121], -0.5, v[38:39]
	v_add_f64 v[68:69], v[68:69], v[64:65]
	v_fma_f64 v[64:65], v[74:75], s[14:15], v[72:73]
	v_fma_f64 v[72:73], v[74:75], s[14:15], v[112:113]
	;; [unrolled: 1-line block ×3, first 2 shown]
	v_add_f64 v[112:113], v[124:125], v[126:127]
	v_fma_f64 v[36:37], v[118:119], s[0:1], v[36:37]
	v_add_f64 v[118:119], v[128:129], v[32:33]
	v_fma_f64 v[122:123], v[58:59], s[2:3], v[120:121]
	v_add_f64 v[50:51], v[70:71], -v[50:51]
	v_add_f64 v[70:71], v[48:49], -v[32:33]
	;; [unrolled: 1-line block ×3, first 2 shown]
	v_fma_f64 v[120:121], v[58:59], s[0:1], v[120:121]
	v_add_f64 v[126:127], v[48:49], v[114:115]
	v_fma_f64 v[36:37], v[116:117], s[4:5], v[36:37]
	v_add_f64 v[116:117], v[118:119], v[60:61]
	v_add_f64 v[118:119], v[34:35], v[62:63]
	v_fma_f64 v[122:123], v[50:51], s[4:5], v[122:123]
	v_add_f64 v[32:33], v[32:33], -v[48:49]
	v_add_f64 v[70:71], v[70:71], v[124:125]
	v_fma_f64 v[120:121], v[50:51], s[12:13], v[120:121]
	v_fma_f64 v[38:39], v[126:127], -0.5, v[38:39]
	v_add_f64 v[124:125], v[40:41], -v[66:67]
	v_add_f64 v[48:49], v[60:61], -v[114:115]
	v_fma_f64 v[118:119], v[118:119], -0.5, v[44:45]
	v_fma_f64 v[74:75], v[112:113], s[14:15], v[74:75]
	v_fma_f64 v[112:113], v[112:113], s[14:15], v[36:37]
	;; [unrolled: 1-line block ×6, first 2 shown]
	v_add_f64 v[116:117], v[116:117], v[114:115]
	v_add_f64 v[36:37], v[44:45], v[56:57]
	v_fma_f64 v[50:51], v[124:125], s[0:1], v[118:119]
	v_add_f64 v[60:61], v[42:43], -v[52:53]
	v_add_f64 v[114:115], v[56:57], -v[34:35]
	;; [unrolled: 1-line block ×3, first 2 shown]
	v_fma_f64 v[120:121], v[58:59], s[4:5], v[120:121]
	v_add_f64 v[130:131], v[42:43], v[52:53]
	v_add_f64 v[32:33], v[32:33], v[48:49]
	v_fma_f64 v[38:39], v[58:59], s[12:13], v[38:39]
	v_add_f64 v[36:37], v[36:37], v[34:35]
	v_add_f64 v[128:129], v[56:57], v[54:55]
	v_fma_f64 v[48:49], v[60:61], s[12:13], v[50:51]
	v_add_f64 v[50:51], v[114:115], v[126:127]
	v_fma_f64 v[58:59], v[124:125], s[2:3], v[118:119]
	v_fma_f64 v[114:115], v[130:131], -0.5, v[46:47]
	v_add_f64 v[118:119], v[56:57], -v[54:55]
	v_fma_f64 v[120:121], v[32:33], s[14:15], v[120:121]
	v_fma_f64 v[126:127], v[32:33], s[14:15], v[38:39]
	v_add_f64 v[32:33], v[40:41], v[66:67]
	v_add_f64 v[36:37], v[36:37], v[62:63]
	v_fma_f64 v[44:45], v[128:129], -0.5, v[44:45]
	v_fma_f64 v[38:39], v[50:51], s[14:15], v[48:49]
	v_fma_f64 v[48:49], v[60:61], s[4:5], v[58:59]
	v_fma_f64 v[58:59], v[118:119], s[2:3], v[114:115]
	v_add_f64 v[130:131], v[34:35], -v[62:63]
	v_add_f64 v[132:133], v[40:41], -v[42:43]
	;; [unrolled: 1-line block ×3, first 2 shown]
	v_fma_f64 v[32:33], v[32:33], -0.5, v[46:47]
	v_add_f64 v[46:47], v[46:47], v[40:41]
	v_add_f64 v[128:129], v[36:37], v[54:55]
	v_fma_f64 v[36:37], v[60:61], s[2:3], v[44:45]
	v_add_f64 v[34:35], v[34:35], -v[56:57]
	v_add_f64 v[54:55], v[62:63], -v[54:55]
	v_fma_f64 v[44:45], v[60:61], s[0:1], v[44:45]
	v_fma_f64 v[56:57], v[130:131], s[4:5], v[58:59]
	v_add_f64 v[58:59], v[132:133], v[134:135]
	v_fma_f64 v[60:61], v[130:131], s[0:1], v[32:33]
	v_add_f64 v[40:41], v[42:43], -v[40:41]
	v_add_f64 v[62:63], v[52:53], -v[66:67]
	v_fma_f64 v[32:33], v[130:131], s[2:3], v[32:33]
	v_add_f64 v[42:43], v[46:47], v[42:43]
	v_fma_f64 v[46:47], v[118:119], s[0:1], v[114:115]
	v_fma_f64 v[36:37], v[124:125], s[12:13], v[36:37]
	v_add_f64 v[34:35], v[34:35], v[54:55]
	v_fma_f64 v[44:45], v[124:125], s[4:5], v[44:45]
	v_fma_f64 v[54:55], v[58:59], s[14:15], v[56:57]
	v_fma_f64 v[56:57], v[118:119], s[4:5], v[60:61]
	v_add_f64 v[40:41], v[40:41], v[62:63]
	v_fma_f64 v[32:33], v[118:119], s[12:13], v[32:33]
	v_add_f64 v[42:43], v[42:43], v[52:53]
	v_fma_f64 v[46:47], v[130:131], s[12:13], v[46:47]
	v_fma_f64 v[48:49], v[50:51], s[14:15], v[48:49]
	;; [unrolled: 1-line block ×4, first 2 shown]
	v_mul_f64 v[36:37], v[54:55], s[12:13]
	v_fma_f64 v[44:45], v[40:41], s[14:15], v[56:57]
	v_fma_f64 v[40:41], v[40:41], s[14:15], v[32:33]
	v_add_f64 v[62:63], v[42:43], v[66:67]
	v_fma_f64 v[42:43], v[58:59], s[14:15], v[46:47]
	s_mov_b32 s18, 0x9b97f4a8
	s_mov_b32 s19, 0x3fe9e377
	v_mul_f64 v[54:55], v[54:55], s[18:19]
	v_fma_f64 v[56:57], v[38:39], s[18:19], v[36:37]
	v_mul_f64 v[36:37], v[44:45], s[0:1]
	s_mov_b32 s17, 0xbfd3c6ef
	s_mov_b32 s16, s14
	v_mul_f64 v[44:45], v[44:45], s[14:15]
	v_mul_f64 v[46:47], v[40:41], s[0:1]
	s_mov_b32 s21, 0xbfe9e377
	s_mov_b32 s20, s18
	v_mul_f64 v[40:41], v[40:41], s[16:17]
	v_mul_f64 v[52:53], v[42:43], s[12:13]
	;; [unrolled: 1-line block ×3, first 2 shown]
	v_fma_f64 v[118:119], v[38:39], s[4:5], v[54:55]
	v_fma_f64 v[58:59], v[50:51], s[14:15], v[36:37]
	;; [unrolled: 1-line block ×4, first 2 shown]
	v_add_f64 v[32:33], v[68:69], v[128:129]
	v_fma_f64 v[130:131], v[34:35], s[2:3], v[40:41]
	v_fma_f64 v[114:115], v[48:49], s[20:21], v[52:53]
	;; [unrolled: 1-line block ×3, first 2 shown]
	v_add_f64 v[34:35], v[116:117], v[62:63]
	v_add_f64 v[36:37], v[64:65], v[56:57]
	v_add_f64 v[38:39], v[122:123], v[118:119]
	v_add_f64 v[40:41], v[74:75], v[58:59]
	v_add_f64 v[42:43], v[120:121], v[124:125]
	v_add_f64 v[44:45], v[112:113], v[66:67]
	v_add_f64 v[46:47], v[126:127], v[130:131]
	v_add_f64 v[48:49], v[72:73], v[114:115]
	v_add_f64 v[50:51], v[70:71], v[132:133]
	v_add_f64 v[52:53], v[68:69], -v[128:129]
	v_add_f64 v[54:55], v[116:117], -v[62:63]
	v_add_f64 v[56:57], v[64:65], -v[56:57]
	v_add_f64 v[60:61], v[74:75], -v[58:59]
	v_add_f64 v[58:59], v[122:123], -v[118:119]
	v_add_f64 v[62:63], v[120:121], -v[124:125]
	v_add_f64 v[64:65], v[112:113], -v[66:67]
	v_add_f64 v[68:69], v[72:73], -v[114:115]
	v_add_f64 v[66:67], v[126:127], -v[130:131]
	v_add_f64 v[70:71], v[70:71], -v[132:133]
	s_barrier
	ds_write_b128 v160, v[32:35]
	ds_write_b128 v160, v[36:39] offset:64
	ds_write_b128 v160, v[40:43] offset:128
	;; [unrolled: 1-line block ×9, first 2 shown]
	s_waitcnt lgkmcnt(0)
	s_barrier
	ds_read_b128 v[34:37], v156
	ds_read_b128 v[38:41], v156 offset:640
	ds_read_b128 v[42:45], v156 offset:1280
	;; [unrolled: 1-line block ×9, first 2 shown]
	s_waitcnt lgkmcnt(8)
	v_mul_f64 v[74:75], v[90:91], v[40:41]
	v_mul_f64 v[90:91], v[90:91], v[38:39]
	s_waitcnt lgkmcnt(7)
	v_mul_f64 v[112:113], v[86:87], v[44:45]
	v_mad_u64_u32 v[32:33], s[22:23], s10, v154, 0
	v_fma_f64 v[38:39], v[88:89], v[38:39], v[74:75]
	v_mul_f64 v[74:75], v[86:87], v[42:43]
	s_waitcnt lgkmcnt(5)
	v_mul_f64 v[86:87], v[78:79], v[52:53]
	v_fma_f64 v[40:41], v[88:89], v[40:41], -v[90:91]
	s_waitcnt lgkmcnt(3)
	v_mul_f64 v[88:89], v[94:95], v[60:61]
	v_mul_f64 v[78:79], v[78:79], v[50:51]
	v_fma_f64 v[42:43], v[84:85], v[42:43], v[112:113]
	v_mul_f64 v[90:91], v[82:83], v[48:49]
	v_mul_f64 v[82:83], v[82:83], v[46:47]
	v_fma_f64 v[44:45], v[84:85], v[44:45], -v[74:75]
	v_fma_f64 v[50:51], v[76:77], v[50:51], v[86:87]
	v_mul_f64 v[74:75], v[102:103], v[56:57]
	v_fma_f64 v[84:85], v[92:93], v[58:59], v[88:89]
	s_waitcnt lgkmcnt(1)
	v_mul_f64 v[86:87], v[106:107], v[66:67]
	v_fma_f64 v[52:53], v[76:77], v[52:53], -v[78:79]
	v_mul_f64 v[78:79], v[106:107], v[68:69]
	v_fma_f64 v[46:47], v[80:81], v[46:47], v[90:91]
	v_fma_f64 v[48:49], v[80:81], v[48:49], -v[82:83]
	v_mul_f64 v[76:77], v[102:103], v[54:55]
	v_fma_f64 v[54:55], v[100:101], v[54:55], v[74:75]
	v_add_f64 v[74:75], v[50:51], v[84:85]
	v_fma_f64 v[68:69], v[104:105], v[68:69], -v[86:87]
	v_mul_f64 v[58:59], v[94:95], v[58:59]
	v_mul_f64 v[80:81], v[98:99], v[64:65]
	v_fma_f64 v[66:67], v[104:105], v[66:67], v[78:79]
	v_mul_f64 v[82:83], v[98:99], v[62:63]
	v_fma_f64 v[56:57], v[100:101], v[56:57], -v[76:77]
	v_add_f64 v[76:77], v[34:35], v[42:43]
	v_fma_f64 v[74:75], v[74:75], -0.5, v[34:35]
	v_add_f64 v[78:79], v[44:45], -v[68:69]
	v_fma_f64 v[58:59], v[92:93], v[60:61], -v[58:59]
	v_fma_f64 v[60:61], v[96:97], v[62:63], v[80:81]
	v_add_f64 v[80:81], v[42:43], v[66:67]
	v_fma_f64 v[62:63], v[96:97], v[64:65], -v[82:83]
	s_waitcnt lgkmcnt(0)
	v_mul_f64 v[64:65], v[110:111], v[72:73]
	v_mul_f64 v[82:83], v[110:111], v[70:71]
	v_add_f64 v[76:77], v[76:77], v[50:51]
	v_fma_f64 v[86:87], v[78:79], s[0:1], v[74:75]
	v_add_f64 v[88:89], v[52:53], -v[58:59]
	v_add_f64 v[90:91], v[42:43], -v[50:51]
	;; [unrolled: 1-line block ×3, first 2 shown]
	v_fma_f64 v[34:35], v[80:81], -0.5, v[34:35]
	v_fma_f64 v[74:75], v[78:79], s[2:3], v[74:75]
	v_fma_f64 v[64:65], v[108:109], v[70:71], v[64:65]
	v_fma_f64 v[70:71], v[108:109], v[72:73], -v[82:83]
	v_add_f64 v[72:73], v[76:77], v[84:85]
	v_add_f64 v[76:77], v[52:53], v[58:59]
	v_fma_f64 v[80:81], v[88:89], s[12:13], v[86:87]
	v_add_f64 v[82:83], v[90:91], v[92:93]
	v_fma_f64 v[86:87], v[88:89], s[2:3], v[34:35]
	;; [unrolled: 2-line block ×3, first 2 shown]
	v_add_f64 v[90:91], v[50:51], -v[42:43]
	v_add_f64 v[92:93], v[84:85], -v[66:67]
	v_fma_f64 v[76:77], v[76:77], -0.5, v[36:37]
	v_add_f64 v[42:43], v[42:43], -v[66:67]
	v_add_f64 v[66:67], v[72:73], v[66:67]
	v_fma_f64 v[72:73], v[82:83], s[14:15], v[80:81]
	v_fma_f64 v[80:81], v[78:79], s[12:13], v[86:87]
	v_fma_f64 v[34:35], v[88:89], s[0:1], v[34:35]
	v_add_f64 v[86:87], v[94:95], v[52:53]
	v_fma_f64 v[74:75], v[82:83], s[14:15], v[74:75]
	v_add_f64 v[82:83], v[90:91], v[92:93]
	v_fma_f64 v[88:89], v[42:43], s[2:3], v[76:77]
	v_add_f64 v[50:51], v[50:51], -v[84:85]
	v_add_f64 v[84:85], v[44:45], -v[52:53]
	;; [unrolled: 1-line block ×3, first 2 shown]
	v_fma_f64 v[76:77], v[42:43], s[0:1], v[76:77]
	v_add_f64 v[92:93], v[44:45], v[68:69]
	v_fma_f64 v[34:35], v[78:79], s[4:5], v[34:35]
	v_add_f64 v[78:79], v[86:87], v[58:59]
	v_add_f64 v[86:87], v[54:55], v[60:61]
	v_fma_f64 v[80:81], v[82:83], s[14:15], v[80:81]
	v_fma_f64 v[88:89], v[50:51], s[4:5], v[88:89]
	v_add_f64 v[84:85], v[84:85], v[90:91]
	v_fma_f64 v[76:77], v[50:51], s[12:13], v[76:77]
	v_fma_f64 v[36:37], v[92:93], -0.5, v[36:37]
	v_fma_f64 v[82:83], v[82:83], s[14:15], v[34:35]
	v_add_f64 v[78:79], v[78:79], v[68:69]
	v_add_f64 v[34:35], v[38:39], v[46:47]
	v_fma_f64 v[86:87], v[86:87], -0.5, v[38:39]
	v_add_f64 v[90:91], v[48:49], -v[70:71]
	v_add_f64 v[44:45], v[52:53], -v[44:45]
	;; [unrolled: 1-line block ×3, first 2 shown]
	v_add_f64 v[68:69], v[46:47], v[64:65]
	v_fma_f64 v[88:89], v[84:85], s[14:15], v[88:89]
	v_fma_f64 v[76:77], v[84:85], s[14:15], v[76:77]
	;; [unrolled: 1-line block ×4, first 2 shown]
	v_add_f64 v[34:35], v[34:35], v[54:55]
	v_fma_f64 v[50:51], v[90:91], s[0:1], v[86:87]
	v_add_f64 v[58:59], v[56:57], -v[62:63]
	v_add_f64 v[92:93], v[46:47], -v[54:55]
	;; [unrolled: 1-line block ×3, first 2 shown]
	v_add_f64 v[96:97], v[56:57], v[62:63]
	v_fma_f64 v[38:39], v[68:69], -0.5, v[38:39]
	v_fma_f64 v[84:85], v[42:43], s[4:5], v[84:85]
	v_add_f64 v[44:45], v[44:45], v[52:53]
	v_fma_f64 v[36:37], v[42:43], s[12:13], v[36:37]
	v_add_f64 v[34:35], v[34:35], v[60:61]
	;; [unrolled: 2-line block ×3, first 2 shown]
	v_fma_f64 v[52:53], v[96:97], -0.5, v[40:41]
	v_add_f64 v[68:69], v[46:47], -v[64:65]
	v_add_f64 v[92:93], v[48:49], v[70:71]
	v_fma_f64 v[94:95], v[58:59], s[2:3], v[38:39]
	v_fma_f64 v[84:85], v[44:45], s[14:15], v[84:85]
	;; [unrolled: 1-line block ×3, first 2 shown]
	v_add_f64 v[98:99], v[34:35], v[64:65]
	v_fma_f64 v[36:37], v[50:51], s[14:15], v[42:43]
	v_add_f64 v[42:43], v[54:55], -v[60:61]
	v_fma_f64 v[34:35], v[68:69], s[2:3], v[52:53]
	v_fma_f64 v[44:45], v[92:93], -0.5, v[40:41]
	v_fma_f64 v[92:93], v[90:91], s[12:13], v[94:95]
	v_add_f64 v[46:47], v[54:55], -v[46:47]
	v_add_f64 v[54:55], v[48:49], -v[56:57]
	;; [unrolled: 1-line block ×3, first 2 shown]
	v_fma_f64 v[86:87], v[90:91], s[2:3], v[86:87]
	v_add_f64 v[40:41], v[40:41], v[48:49]
	v_fma_f64 v[34:35], v[42:43], s[4:5], v[34:35]
	v_fma_f64 v[100:101], v[42:43], s[0:1], v[44:45]
	v_add_f64 v[48:49], v[56:57], -v[48:49]
	v_add_f64 v[102:103], v[62:63], -v[70:71]
	v_fma_f64 v[44:45], v[42:43], s[2:3], v[44:45]
	v_fma_f64 v[52:53], v[68:69], s[0:1], v[52:53]
	v_add_f64 v[54:55], v[54:55], v[94:95]
	v_fma_f64 v[86:87], v[58:59], s[4:5], v[86:87]
	v_add_f64 v[60:61], v[60:61], -v[64:65]
	v_add_f64 v[40:41], v[40:41], v[56:57]
	v_fma_f64 v[56:57], v[68:69], s[4:5], v[100:101]
	v_add_f64 v[48:49], v[48:49], v[102:103]
	v_fma_f64 v[44:45], v[68:69], s[12:13], v[44:45]
	v_fma_f64 v[42:43], v[42:43], s[12:13], v[52:53]
	;; [unrolled: 1-line block ×4, first 2 shown]
	v_add_f64 v[34:35], v[46:47], v[60:61]
	v_fma_f64 v[46:47], v[50:51], s[14:15], v[86:87]
	v_add_f64 v[40:41], v[40:41], v[62:63]
	v_fma_f64 v[50:51], v[48:49], s[14:15], v[56:57]
	v_fma_f64 v[44:45], v[48:49], s[14:15], v[44:45]
	;; [unrolled: 1-line block ×3, first 2 shown]
	v_mul_f64 v[48:49], v[52:53], s[12:13]
	v_fma_f64 v[38:39], v[90:91], s[4:5], v[38:39]
	v_fma_f64 v[54:55], v[34:35], s[14:15], v[92:93]
	v_add_f64 v[60:61], v[40:41], v[70:71]
	v_mul_f64 v[40:41], v[44:45], s[0:1]
	v_mul_f64 v[44:45], v[44:45], s[16:17]
	v_fma_f64 v[62:63], v[36:37], s[18:19], v[48:49]
	v_mul_f64 v[48:49], v[52:53], s[18:19]
	v_fma_f64 v[56:57], v[34:35], s[14:15], v[38:39]
	v_mul_f64 v[38:39], v[50:51], s[0:1]
	v_mul_f64 v[50:51], v[50:51], s[14:15]
	;; [unrolled: 1-line block ×4, first 2 shown]
	v_add_f64 v[34:35], v[66:67], v[98:99]
	v_fma_f64 v[86:87], v[36:37], s[4:5], v[48:49]
	v_fma_f64 v[68:69], v[56:57], s[16:17], v[40:41]
	;; [unrolled: 1-line block ×7, first 2 shown]
	v_add_f64 v[36:37], v[78:79], v[60:61]
	v_add_f64 v[38:39], v[72:73], v[62:63]
	;; [unrolled: 1-line block ×9, first 2 shown]
	v_add_f64 v[54:55], v[66:67], -v[98:99]
	v_add_f64 v[56:57], v[78:79], -v[60:61]
	;; [unrolled: 1-line block ×10, first 2 shown]
	ds_write_b128 v156, v[34:37]
	ds_write_b128 v156, v[38:41] offset:640
	ds_write_b128 v156, v[42:45] offset:1280
	;; [unrolled: 1-line block ×9, first 2 shown]
	s_waitcnt lgkmcnt(0)
	s_barrier
	ds_read_b128 v[34:37], v156
	ds_read_b128 v[38:41], v156 offset:640
	v_mad_u64_u32 v[46:47], s[0:1], s8, v155, 0
	s_mov_b32 s2, 0x47ae147b
	s_waitcnt lgkmcnt(1)
	v_mul_f64 v[42:43], v[10:11], v[36:37]
	v_mul_f64 v[10:11], v[10:11], v[34:35]
	v_mad_u64_u32 v[44:45], s[0:1], s11, v154, v[33:34]
	s_mov_b32 s3, 0x3f647ae1
	v_mov_b32_e32 v50, s7
	v_mov_b32_e32 v33, v44
	v_lshlrev_b64 v[32:33], 4, v[32:33]
	v_fma_f64 v[34:35], v[8:9], v[34:35], v[42:43]
	v_fma_f64 v[10:11], v[8:9], v[36:37], -v[10:11]
	v_mov_b32_e32 v8, v47
	v_mad_u64_u32 v[42:43], s[0:1], s9, v155, v[8:9]
	v_add_co_u32_e64 v51, s[0:1], s6, v32
	v_mov_b32_e32 v47, v42
	v_mul_f64 v[8:9], v[34:35], s[2:3]
	ds_read_b128 v[34:37], v156 offset:1600
	ds_read_b128 v[42:45], v156 offset:2240
	v_mul_f64 v[10:11], v[10:11], s[2:3]
	v_addc_co_u32_e64 v52, s[0:1], v50, v33, s[0:1]
	s_waitcnt lgkmcnt(1)
	v_mul_f64 v[48:49], v[6:7], v[36:37]
	v_mul_f64 v[6:7], v[6:7], v[34:35]
	v_lshlrev_b64 v[32:33], 4, v[46:47]
	v_add_co_u32_e64 v50, s[0:1], v51, v32
	v_addc_co_u32_e64 v51, s[0:1], v52, v33, s[0:1]
	v_fma_f64 v[34:35], v[4:5], v[34:35], v[48:49]
	v_fma_f64 v[36:37], v[4:5], v[36:37], -v[6:7]
	ds_read_b128 v[4:7], v156 offset:3200
	global_store_dwordx4 v[50:51], v[8:11], off
	ds_read_b128 v[46:49], v156 offset:4800
	s_mul_i32 s0, s9, 0x64
	s_mul_hi_u32 s1, s8, 0x64
	s_add_i32 s1, s1, s0
	v_mul_f64 v[8:9], v[34:35], s[2:3]
	v_mul_f64 v[10:11], v[36:37], s[2:3]
	ds_read_b128 v[32:35], v156 offset:3840
	s_waitcnt lgkmcnt(2)
	v_mul_f64 v[36:37], v[2:3], v[6:7]
	v_mul_f64 v[2:3], v[2:3], v[4:5]
	s_mul_i32 s0, s8, 0x64
	s_lshl_b64 s[4:5], s[0:1], 4
	v_mov_b32_e32 v52, s5
	v_add_co_u32_e64 v50, s[0:1], s4, v50
	v_addc_co_u32_e64 v51, s[0:1], v51, v52, s[0:1]
	v_fma_f64 v[4:5], v[0:1], v[4:5], v[36:37]
	v_fma_f64 v[6:7], v[0:1], v[6:7], -v[2:3]
	ds_read_b128 v[0:3], v156 offset:5440
	s_waitcnt lgkmcnt(2)
	v_mul_f64 v[36:37], v[14:15], v[48:49]
	v_mul_f64 v[14:15], v[14:15], v[46:47]
	global_store_dwordx4 v[50:51], v[8:11], off
	v_mul_f64 v[4:5], v[4:5], s[2:3]
	v_mul_f64 v[6:7], v[6:7], s[2:3]
	v_fma_f64 v[8:9], v[12:13], v[46:47], v[36:37]
	v_fma_f64 v[10:11], v[12:13], v[48:49], -v[14:15]
	v_mul_f64 v[12:13], v[18:19], v[40:41]
	v_mul_f64 v[14:15], v[18:19], v[38:39]
	v_add_co_u32_e64 v18, s[0:1], s4, v50
	v_addc_co_u32_e64 v19, s[0:1], v51, v52, s[0:1]
	v_mul_f64 v[8:9], v[8:9], s[2:3]
	v_mul_f64 v[10:11], v[10:11], s[2:3]
	v_fma_f64 v[12:13], v[16:17], v[38:39], v[12:13]
	v_fma_f64 v[14:15], v[16:17], v[40:41], -v[14:15]
	v_add_co_u32_e64 v16, s[0:1], s4, v18
	v_addc_co_u32_e64 v17, s[0:1], v19, v52, s[0:1]
	global_store_dwordx4 v[18:19], v[4:7], off
	global_store_dwordx4 v[16:17], v[8:11], off
	v_mul_f64 v[4:5], v[12:13], s[2:3]
	v_mul_f64 v[8:9], v[22:23], v[44:45]
	;; [unrolled: 1-line block ×4, first 2 shown]
	s_waitcnt lgkmcnt(1)
	v_mul_f64 v[12:13], v[26:27], v[34:35]
	v_mul_f64 v[14:15], v[26:27], v[32:33]
	s_mul_hi_u32 s1, s8, 0xfffffefc
	s_waitcnt lgkmcnt(0)
	v_mul_f64 v[18:19], v[30:31], v[2:3]
	s_mul_i32 s0, s9, 0xfffffefc
	v_fma_f64 v[8:9], v[20:21], v[42:43], v[8:9]
	v_fma_f64 v[10:11], v[20:21], v[44:45], -v[10:11]
	v_mul_f64 v[20:21], v[30:31], v[0:1]
	s_sub_i32 s1, s1, s8
	s_add_i32 s1, s1, s0
	s_mul_i32 s0, s8, 0xfffffefc
	s_lshl_b64 s[6:7], s[0:1], 4
	v_mov_b32_e32 v22, s7
	v_add_co_u32_e64 v16, s[0:1], s6, v16
	v_addc_co_u32_e64 v17, s[0:1], v17, v22, s[0:1]
	global_store_dwordx4 v[16:17], v[4:7], off
	v_add_co_u32_e64 v16, s[0:1], s4, v16
	v_mul_f64 v[4:5], v[8:9], s[2:3]
	v_mul_f64 v[6:7], v[10:11], s[2:3]
	v_fma_f64 v[8:9], v[24:25], v[32:33], v[12:13]
	v_fma_f64 v[10:11], v[24:25], v[34:35], -v[14:15]
	v_fma_f64 v[12:13], v[28:29], v[0:1], v[18:19]
	v_fma_f64 v[14:15], v[28:29], v[2:3], -v[20:21]
	v_addc_co_u32_e64 v17, s[0:1], v17, v52, s[0:1]
	global_store_dwordx4 v[16:17], v[4:7], off
	v_mul_f64 v[0:1], v[8:9], s[2:3]
	v_mul_f64 v[2:3], v[10:11], s[2:3]
	;; [unrolled: 1-line block ×4, first 2 shown]
	v_add_co_u32_e64 v8, s[0:1], s4, v16
	v_addc_co_u32_e64 v9, s[0:1], v17, v52, s[0:1]
	global_store_dwordx4 v[8:9], v[0:3], off
	s_nop 0
	v_add_co_u32_e64 v0, s[0:1], s4, v8
	v_addc_co_u32_e64 v1, s[0:1], v9, v52, s[0:1]
	global_store_dwordx4 v[0:1], v[4:7], off
	s_and_b64 exec, exec, vcc
	s_cbranch_execz .LBB0_15
; %bb.14:
	s_movk_i32 s0, 0x1000
	global_load_dwordx4 v[2:5], v[152:153], off offset:1280
	global_load_dwordx4 v[6:9], v[152:153], off offset:2880
	v_add_co_u32_e32 v18, vcc, s0, v152
	v_addc_co_u32_e32 v19, vcc, 0, v153, vcc
	global_load_dwordx4 v[10:13], v[18:19], off offset:384
	global_load_dwordx4 v[14:17], v[18:19], off offset:1984
	ds_read_b128 v[18:21], v156 offset:1280
	ds_read_b128 v[22:25], v156 offset:2880
	;; [unrolled: 1-line block ×4, first 2 shown]
	v_mov_b32_e32 v35, s7
	v_add_co_u32_e32 v34, vcc, s6, v0
	v_addc_co_u32_e32 v35, vcc, v1, v35, vcc
	v_mov_b32_e32 v46, s5
	v_add_co_u32_e32 v36, vcc, s4, v34
	v_addc_co_u32_e32 v37, vcc, v35, v46, vcc
	v_add_co_u32_e32 v38, vcc, s4, v36
	v_addc_co_u32_e32 v39, vcc, v37, v46, vcc
	s_waitcnt vmcnt(3) lgkmcnt(3)
	v_mul_f64 v[0:1], v[20:21], v[4:5]
	v_mul_f64 v[4:5], v[18:19], v[4:5]
	s_waitcnt vmcnt(2) lgkmcnt(2)
	v_mul_f64 v[40:41], v[24:25], v[8:9]
	v_mul_f64 v[8:9], v[22:23], v[8:9]
	;; [unrolled: 3-line block ×4, first 2 shown]
	v_fma_f64 v[0:1], v[18:19], v[2:3], v[0:1]
	v_fma_f64 v[2:3], v[2:3], v[20:21], -v[4:5]
	v_fma_f64 v[4:5], v[22:23], v[6:7], v[40:41]
	v_fma_f64 v[6:7], v[6:7], v[24:25], -v[8:9]
	;; [unrolled: 2-line block ×4, first 2 shown]
	v_mul_f64 v[0:1], v[0:1], s[2:3]
	v_mul_f64 v[2:3], v[2:3], s[2:3]
	;; [unrolled: 1-line block ×8, first 2 shown]
	v_add_co_u32_e32 v16, vcc, s4, v38
	v_addc_co_u32_e32 v17, vcc, v39, v46, vcc
	global_store_dwordx4 v[34:35], v[0:3], off
	global_store_dwordx4 v[36:37], v[4:7], off
	;; [unrolled: 1-line block ×4, first 2 shown]
.LBB0_15:
	s_endpgm
	.section	.rodata,"a",@progbits
	.p2align	6, 0x0
	.amdhsa_kernel bluestein_single_fwd_len400_dim1_dp_op_CI_CI
		.amdhsa_group_segment_fixed_size 19200
		.amdhsa_private_segment_fixed_size 0
		.amdhsa_kernarg_size 104
		.amdhsa_user_sgpr_count 6
		.amdhsa_user_sgpr_private_segment_buffer 1
		.amdhsa_user_sgpr_dispatch_ptr 0
		.amdhsa_user_sgpr_queue_ptr 0
		.amdhsa_user_sgpr_kernarg_segment_ptr 1
		.amdhsa_user_sgpr_dispatch_id 0
		.amdhsa_user_sgpr_flat_scratch_init 0
		.amdhsa_user_sgpr_private_segment_size 0
		.amdhsa_uses_dynamic_stack 0
		.amdhsa_system_sgpr_private_segment_wavefront_offset 0
		.amdhsa_system_sgpr_workgroup_id_x 1
		.amdhsa_system_sgpr_workgroup_id_y 0
		.amdhsa_system_sgpr_workgroup_id_z 0
		.amdhsa_system_sgpr_workgroup_info 0
		.amdhsa_system_vgpr_workitem_id 0
		.amdhsa_next_free_vgpr 212
		.amdhsa_next_free_sgpr 24
		.amdhsa_reserve_vcc 1
		.amdhsa_reserve_flat_scratch 0
		.amdhsa_float_round_mode_32 0
		.amdhsa_float_round_mode_16_64 0
		.amdhsa_float_denorm_mode_32 3
		.amdhsa_float_denorm_mode_16_64 3
		.amdhsa_dx10_clamp 1
		.amdhsa_ieee_mode 1
		.amdhsa_fp16_overflow 0
		.amdhsa_exception_fp_ieee_invalid_op 0
		.amdhsa_exception_fp_denorm_src 0
		.amdhsa_exception_fp_ieee_div_zero 0
		.amdhsa_exception_fp_ieee_overflow 0
		.amdhsa_exception_fp_ieee_underflow 0
		.amdhsa_exception_fp_ieee_inexact 0
		.amdhsa_exception_int_div_zero 0
	.end_amdhsa_kernel
	.text
.Lfunc_end0:
	.size	bluestein_single_fwd_len400_dim1_dp_op_CI_CI, .Lfunc_end0-bluestein_single_fwd_len400_dim1_dp_op_CI_CI
                                        ; -- End function
	.section	.AMDGPU.csdata,"",@progbits
; Kernel info:
; codeLenInByte = 11596
; NumSgprs: 28
; NumVgprs: 212
; ScratchSize: 0
; MemoryBound: 0
; FloatMode: 240
; IeeeMode: 1
; LDSByteSize: 19200 bytes/workgroup (compile time only)
; SGPRBlocks: 3
; VGPRBlocks: 52
; NumSGPRsForWavesPerEU: 28
; NumVGPRsForWavesPerEU: 212
; Occupancy: 1
; WaveLimiterHint : 1
; COMPUTE_PGM_RSRC2:SCRATCH_EN: 0
; COMPUTE_PGM_RSRC2:USER_SGPR: 6
; COMPUTE_PGM_RSRC2:TRAP_HANDLER: 0
; COMPUTE_PGM_RSRC2:TGID_X_EN: 1
; COMPUTE_PGM_RSRC2:TGID_Y_EN: 0
; COMPUTE_PGM_RSRC2:TGID_Z_EN: 0
; COMPUTE_PGM_RSRC2:TIDIG_COMP_CNT: 0
	.type	__hip_cuid_e82ba7e9422781a5,@object ; @__hip_cuid_e82ba7e9422781a5
	.section	.bss,"aw",@nobits
	.globl	__hip_cuid_e82ba7e9422781a5
__hip_cuid_e82ba7e9422781a5:
	.byte	0                               ; 0x0
	.size	__hip_cuid_e82ba7e9422781a5, 1

	.ident	"AMD clang version 19.0.0git (https://github.com/RadeonOpenCompute/llvm-project roc-6.4.0 25133 c7fe45cf4b819c5991fe208aaa96edf142730f1d)"
	.section	".note.GNU-stack","",@progbits
	.addrsig
	.addrsig_sym __hip_cuid_e82ba7e9422781a5
	.amdgpu_metadata
---
amdhsa.kernels:
  - .args:
      - .actual_access:  read_only
        .address_space:  global
        .offset:         0
        .size:           8
        .value_kind:     global_buffer
      - .actual_access:  read_only
        .address_space:  global
        .offset:         8
        .size:           8
        .value_kind:     global_buffer
      - .actual_access:  read_only
        .address_space:  global
        .offset:         16
        .size:           8
        .value_kind:     global_buffer
      - .actual_access:  read_only
        .address_space:  global
        .offset:         24
        .size:           8
        .value_kind:     global_buffer
      - .actual_access:  read_only
        .address_space:  global
        .offset:         32
        .size:           8
        .value_kind:     global_buffer
      - .offset:         40
        .size:           8
        .value_kind:     by_value
      - .address_space:  global
        .offset:         48
        .size:           8
        .value_kind:     global_buffer
      - .address_space:  global
        .offset:         56
        .size:           8
        .value_kind:     global_buffer
      - .address_space:  global
        .offset:         64
        .size:           8
        .value_kind:     global_buffer
      - .address_space:  global
        .offset:         72
        .size:           8
        .value_kind:     global_buffer
      - .offset:         80
        .size:           4
        .value_kind:     by_value
      - .address_space:  global
        .offset:         88
        .size:           8
        .value_kind:     global_buffer
      - .address_space:  global
        .offset:         96
        .size:           8
        .value_kind:     global_buffer
    .group_segment_fixed_size: 19200
    .kernarg_segment_align: 8
    .kernarg_segment_size: 104
    .language:       OpenCL C
    .language_version:
      - 2
      - 0
    .max_flat_workgroup_size: 120
    .name:           bluestein_single_fwd_len400_dim1_dp_op_CI_CI
    .private_segment_fixed_size: 0
    .sgpr_count:     28
    .sgpr_spill_count: 0
    .symbol:         bluestein_single_fwd_len400_dim1_dp_op_CI_CI.kd
    .uniform_work_group_size: 1
    .uses_dynamic_stack: false
    .vgpr_count:     212
    .vgpr_spill_count: 0
    .wavefront_size: 64
amdhsa.target:   amdgcn-amd-amdhsa--gfx906
amdhsa.version:
  - 1
  - 2
...

	.end_amdgpu_metadata
